;; amdgpu-corpus repo=ROCm/rocFFT kind=compiled arch=gfx1030 opt=O3
	.text
	.amdgcn_target "amdgcn-amd-amdhsa--gfx1030"
	.amdhsa_code_object_version 6
	.protected	fft_rtc_back_len100_factors_10_10_wgs_190_tpt_10_dim2_dp_ip_CI_sbcc_twdbase8_2step_dirReg_intrinsicReadWrite ; -- Begin function fft_rtc_back_len100_factors_10_10_wgs_190_tpt_10_dim2_dp_ip_CI_sbcc_twdbase8_2step_dirReg_intrinsicReadWrite
	.globl	fft_rtc_back_len100_factors_10_10_wgs_190_tpt_10_dim2_dp_ip_CI_sbcc_twdbase8_2step_dirReg_intrinsicReadWrite
	.p2align	8
	.type	fft_rtc_back_len100_factors_10_10_wgs_190_tpt_10_dim2_dp_ip_CI_sbcc_twdbase8_2step_dirReg_intrinsicReadWrite,@function
fft_rtc_back_len100_factors_10_10_wgs_190_tpt_10_dim2_dp_ip_CI_sbcc_twdbase8_2step_dirReg_intrinsicReadWrite: ; @fft_rtc_back_len100_factors_10_10_wgs_190_tpt_10_dim2_dp_ip_CI_sbcc_twdbase8_2step_dirReg_intrinsicReadWrite
; %bb.0:
	s_load_dwordx4 s[0:3], s[4:5], 0x10
	s_mov_b64 s[18:19], 0
	s_waitcnt lgkmcnt(0)
	s_load_dwordx2 s[14:15], s[0:1], 0x8
	s_waitcnt lgkmcnt(0)
	s_add_u32 s0, s14, -1
	s_addc_u32 s1, s15, -1
	s_add_u32 s7, 0, 0x50d6f500
	s_addc_u32 s8, 0, 46
	s_mul_hi_u32 s10, s7, 0xffffffed
	s_add_i32 s8, s8, 0xd794330
	s_sub_i32 s10, s10, s7
	s_mul_i32 s12, s8, 0xffffffed
	s_mul_i32 s9, s7, 0xffffffed
	s_add_i32 s10, s10, s12
	s_mul_hi_u32 s11, s7, s9
	s_mul_i32 s16, s7, s10
	s_mul_hi_u32 s12, s7, s10
	s_mul_hi_u32 s13, s8, s9
	s_mul_i32 s9, s8, s9
	s_add_u32 s11, s11, s16
	s_addc_u32 s12, 0, s12
	s_mul_hi_u32 s17, s8, s10
	s_add_u32 s9, s11, s9
	s_mul_i32 s10, s8, s10
	s_addc_u32 s9, s12, s13
	s_addc_u32 s11, s17, 0
	s_add_u32 s9, s9, s10
	v_add_co_u32 v1, s7, s7, s9
	s_addc_u32 s9, 0, s11
	s_cmp_lg_u32 s7, 0
	s_addc_u32 s7, s8, s9
	v_readfirstlane_b32 s8, v1
	s_mul_i32 s10, s0, s7
	s_mul_hi_u32 s9, s0, s7
	s_mul_hi_u32 s11, s1, s7
	s_mul_i32 s7, s1, s7
	s_mul_hi_u32 s12, s0, s8
	s_mul_hi_u32 s13, s1, s8
	s_mul_i32 s8, s1, s8
	s_add_u32 s10, s12, s10
	s_addc_u32 s9, 0, s9
	s_add_u32 s8, s10, s8
	s_addc_u32 s8, s9, s13
	s_addc_u32 s9, s11, 0
	s_add_u32 s10, s8, s7
	s_addc_u32 s11, 0, s9
	s_mul_i32 s8, s10, 19
	s_add_u32 s7, s10, 1
	v_sub_co_u32 v1, s0, s0, s8
	s_mul_hi_u32 s8, s10, 19
	s_addc_u32 s9, s11, 0
	s_mul_i32 s12, s11, 19
	v_sub_co_u32 v2, s13, v1, 19
	s_add_u32 s16, s10, 2
	s_addc_u32 s17, s11, 0
	s_add_i32 s8, s8, s12
	s_cmp_lg_u32 s0, 0
	v_readfirstlane_b32 s0, v2
	s_subb_u32 s8, s1, s8
	s_cmp_lg_u32 s13, 0
	s_load_dwordx2 s[12:13], s[4:5], 0x0
	s_subb_u32 s1, s8, 0
	s_cmp_gt_u32 s0, 18
	s_cselect_b32 s0, -1, 0
	s_cmp_eq_u32 s1, 0
	v_readfirstlane_b32 s1, v1
	s_cselect_b32 s0, s0, -1
	s_cmp_lg_u32 s0, 0
	s_cselect_b32 s16, s16, s7
	s_cselect_b32 s17, s17, s9
	s_cmp_gt_u32 s1, 18
	s_load_dwordx2 s[0:1], s[4:5], 0x50
	s_cselect_b32 s7, -1, 0
	s_cmp_eq_u32 s8, 0
	s_load_dwordx2 s[8:9], s[2:3], 0x0
	s_cselect_b32 s7, s7, -1
	s_cmp_lg_u32 s7, 0
	s_mov_b32 s7, 0
	s_waitcnt lgkmcnt(0)
	s_cselect_b32 s9, s16, s10
	s_cselect_b32 s10, s17, s11
	s_add_u32 s16, s9, 1
	s_addc_u32 s17, s10, 0
	v_cmp_lt_u64_e64 s7, s[6:7], s[16:17]
	s_and_b32 vcc_lo, exec_lo, s7
	s_cbranch_vccnz .LBB0_2
; %bb.1:
	v_cvt_f32_u32_e32 v1, s16
	s_sub_i32 s9, 0, s16
	v_rcp_iflag_f32_e32 v1, v1
	v_mul_f32_e32 v1, 0x4f7ffffe, v1
	v_cvt_u32_f32_e32 v1, v1
	v_readfirstlane_b32 s7, v1
	s_mul_i32 s9, s9, s7
	s_mul_hi_u32 s9, s7, s9
	s_add_i32 s7, s7, s9
	s_mul_hi_u32 s7, s6, s7
	s_mul_i32 s9, s7, s16
	s_add_i32 s10, s7, 1
	s_sub_i32 s9, s6, s9
	s_sub_i32 s11, s9, s16
	s_cmp_ge_u32 s9, s16
	s_cselect_b32 s7, s10, s7
	s_cselect_b32 s9, s11, s9
	s_add_i32 s10, s7, 1
	s_cmp_ge_u32 s9, s16
	s_cselect_b32 s18, s10, s7
.LBB0_2:
	s_load_dwordx2 s[10:11], s[4:5], 0x8
	s_mul_i32 s4, s18, s17
	s_mul_hi_u32 s5, s18, s16
	v_mul_u32_u24_e32 v1, 0xd7a, v0
	s_add_i32 s5, s5, s4
	s_mul_i32 s4, s18, s16
	s_mov_b32 s20, 0x9b97f4a8
	s_sub_u32 s4, s6, s4
	s_subb_u32 s5, 0, s5
	s_mul_hi_u32 s6, s4, 19
	s_mul_i32 s5, s5, 19
	s_mul_i32 s16, s4, 19
	s_add_i32 s9, s6, s5
	s_load_dwordx4 s[4:7], s[2:3], 0x8
	v_lshrrev_b32_e32 v43, 16, v1
	s_waitcnt lgkmcnt(0)
	s_mov_b32 s7, 0x3fe2cf23
	s_mov_b32 s21, 0x3fe9e377
	;; [unrolled: 1-line block ×4, first 2 shown]
	v_mul_lo_u16 v1, v43, 19
	v_add_nc_u32_e32 v9, 40, v43
	v_add_nc_u32_e32 v13, 60, v43
	v_add_nc_u32_e32 v5, 20, v43
	v_or_b32_e32 v21, 0x50, v43
	v_sub_nc_u16 v1, v0, v1
	v_mul_lo_u32 v9, s8, v9
	v_mul_lo_u32 v13, s8, v13
	;; [unrolled: 1-line block ×4, first 2 shown]
	v_and_b32_e32 v45, 0xffff, v1
	v_mul_lo_u32 v1, s8, v43
	s_mov_b32 s24, s20
	v_mul_u32_u24_e32 v0, 0x159, v0
	s_mul_i32 s2, s16, s4
	s_mul_i32 s3, s6, s18
	v_mul_lo_u32 v44, s4, v45
	s_add_i32 s5, s3, s2
	v_add_co_u32 v41, s2, s16, v45
	v_add_co_ci_u32_e64 v42, null, s9, 0, s2
	s_add_u32 s2, s16, 19
	s_addc_u32 s3, s9, 0
	v_add_lshl_u32 v9, v44, v9, 4
	v_cmp_le_u64_e64 s2, s[2:3], s[14:15]
	v_cmp_gt_u64_e32 vcc_lo, s[14:15], v[41:42]
	v_add_lshl_u32 v13, v44, v13, 4
	s_lshl_b32 s9, s5, 4
	s_mov_b32 s3, 0x31014000
	v_add_lshl_u32 v1, v44, v1, 4
	v_add_lshl_u32 v5, v44, v5, 4
	s_or_b32 vcc_lo, s2, vcc_lo
	s_mov_b32 s2, -2
	v_cndmask_b32_e32 v9, -1, v9, vcc_lo
	v_cndmask_b32_e32 v13, -1, v13, vcc_lo
	v_add_lshl_u32 v21, v44, v21, 4
	v_cndmask_b32_e32 v1, -1, v1, vcc_lo
	v_cndmask_b32_e32 v5, -1, v5, vcc_lo
	s_clause 0x1
	buffer_load_dwordx4 v[46:49], v9, s[0:3], s9 offen
	buffer_load_dwordx4 v[50:53], v13, s[0:3], s9 offen
	v_cndmask_b32_e32 v21, -1, v21, vcc_lo
	s_clause 0x1
	buffer_load_dwordx4 v[17:20], v1, s[0:3], s9 offen
	buffer_load_dwordx4 v[25:28], v5, s[0:3], s9 offen
	v_add_nc_u32_e32 v9, 50, v43
	v_add_nc_u32_e32 v13, 0x46, v43
	buffer_load_dwordx4 v[54:57], v21, s[0:3], s9 offen
	v_add_nc_u32_e32 v1, 10, v43
	v_add_nc_u32_e32 v5, 30, v43
	v_mul_lo_u32 v9, s8, v9
	v_mul_lo_u32 v13, s8, v13
	v_add_nc_u32_e32 v21, 0x5a, v43
	v_mul_lo_u32 v1, s8, v1
	v_mul_lo_u32 v5, s8, v5
	s_mov_b32 s16, 0x134454ff
	s_mov_b32 s17, 0xbfee6f0e
	v_mul_lo_u32 v21, s8, v21
	v_add_lshl_u32 v9, v44, v9, 4
	v_add_lshl_u32 v13, v44, v13, 4
	s_mov_b32 s5, 0x3fee6f0e
	v_add_lshl_u32 v1, v44, v1, 4
	v_add_lshl_u32 v5, v44, v5, 4
	v_cndmask_b32_e32 v9, -1, v9, vcc_lo
	v_cndmask_b32_e32 v13, -1, v13, vcc_lo
	v_add_lshl_u32 v21, v44, v21, 4
	v_cndmask_b32_e32 v1, -1, v1, vcc_lo
	v_cndmask_b32_e32 v5, -1, v5, vcc_lo
	s_clause 0x1
	buffer_load_dwordx4 v[9:12], v9, s[0:3], s9 offen
	buffer_load_dwordx4 v[13:16], v13, s[0:3], s9 offen
	v_cndmask_b32_e32 v21, -1, v21, vcc_lo
	s_clause 0x1
	buffer_load_dwordx4 v[1:4], v1, s[0:3], s9 offen
	buffer_load_dwordx4 v[5:8], v5, s[0:3], s9 offen
	s_mov_b32 s4, s16
	s_mov_b32 s18, 0x4755a5e
	buffer_load_dwordx4 v[21:24], v21, s[0:3], s9 offen
	s_mov_b32 s19, 0xbfe2cf23
	s_mov_b32 s6, s18
	;; [unrolled: 1-line block ×5, first 2 shown]
	v_mul_lo_u16 v42, v43, 26
	v_lshrrev_b32_e32 v0, 16, v0
	v_lshrrev_b16 v42, 8, v42
	v_mul_lo_u16 v0, 0x64, v0
	v_mul_lo_u16 v42, v42, 10
	v_sub_nc_u16 v42, v43, v42
	s_waitcnt vmcnt(8)
	v_add_f64 v[31:32], v[46:47], v[50:51]
	v_add_f64 v[37:38], v[48:49], -v[52:53]
	s_waitcnt vmcnt(6)
	v_add_f64 v[39:40], v[25:26], -v[46:47]
	v_add_f64 v[29:30], v[17:18], v[25:26]
	s_waitcnt vmcnt(5)
	v_add_f64 v[35:36], v[27:28], -v[56:57]
	v_add_f64 v[58:59], v[54:55], -v[50:51]
	;; [unrolled: 1-line block ×3, first 2 shown]
	v_fma_f64 v[33:34], v[31:32], -0.5, v[17:18]
	v_add_f64 v[29:30], v[29:30], v[46:47]
	v_add_f64 v[39:40], v[39:40], v[58:59]
	v_add_f64 v[58:59], v[46:47], -v[25:26]
	v_add_f64 v[46:47], v[46:47], -v[50:51]
	v_fma_f64 v[31:32], v[35:36], s[16:17], v[33:34]
	v_fma_f64 v[33:34], v[35:36], s[4:5], v[33:34]
	v_add_f64 v[29:30], v[29:30], v[50:51]
	v_add_f64 v[50:51], v[27:28], -v[48:49]
	v_add_f64 v[58:59], v[58:59], v[60:61]
	s_waitcnt vmcnt(0)
	v_add_f64 v[60:61], v[13:14], -v[21:22]
	v_fma_f64 v[31:32], v[37:38], s[18:19], v[31:32]
	v_fma_f64 v[33:34], v[37:38], s[6:7], v[33:34]
	v_add_f64 v[29:30], v[29:30], v[54:55]
	v_fma_f64 v[31:32], v[39:40], s[14:15], v[31:32]
	v_fma_f64 v[33:34], v[39:40], s[14:15], v[33:34]
	v_add_f64 v[39:40], v[25:26], v[54:55]
	v_add_f64 v[54:55], v[25:26], -v[54:55]
	v_fma_f64 v[39:40], v[39:40], -0.5, v[17:18]
	v_fma_f64 v[17:18], v[37:38], s[4:5], v[39:40]
	v_fma_f64 v[37:38], v[37:38], s[16:17], v[39:40]
	v_add_f64 v[39:40], v[48:49], v[52:53]
	v_fma_f64 v[17:18], v[35:36], s[18:19], v[17:18]
	v_fma_f64 v[35:36], v[35:36], s[6:7], v[37:38]
	v_fma_f64 v[39:40], v[39:40], -0.5, v[19:20]
	v_add_f64 v[37:38], v[19:20], v[27:28]
	v_fma_f64 v[17:18], v[58:59], s[14:15], v[17:18]
	v_fma_f64 v[35:36], v[58:59], s[14:15], v[35:36]
	;; [unrolled: 1-line block ×3, first 2 shown]
	v_add_f64 v[58:59], v[56:57], -v[52:53]
	v_fma_f64 v[39:40], v[54:55], s[16:17], v[39:40]
	v_add_f64 v[37:38], v[37:38], v[48:49]
	v_fma_f64 v[25:26], v[46:47], s[6:7], v[25:26]
	v_add_f64 v[50:51], v[50:51], v[58:59]
	;; [unrolled: 2-line block ×3, first 2 shown]
	v_add_f64 v[58:59], v[21:22], -v[13:14]
	v_fma_f64 v[25:26], v[50:51], s[14:15], v[25:26]
	v_fma_f64 v[39:40], v[50:51], s[14:15], v[39:40]
	v_add_f64 v[50:51], v[27:28], v[56:57]
	v_add_f64 v[27:28], v[48:49], -v[27:28]
	v_add_f64 v[48:49], v[52:53], -v[56:57]
	v_add_f64 v[37:38], v[37:38], v[56:57]
	v_add_f64 v[56:57], v[5:6], -v[9:10]
	v_fma_f64 v[50:51], v[50:51], -0.5, v[19:20]
	v_add_f64 v[27:28], v[27:28], v[48:49]
	v_add_f64 v[48:49], v[9:10], v[13:14]
	;; [unrolled: 1-line block ×3, first 2 shown]
	v_add_f64 v[58:59], v[9:10], -v[5:6]
	v_fma_f64 v[19:20], v[46:47], s[16:17], v[50:51]
	v_fma_f64 v[46:47], v[46:47], s[4:5], v[50:51]
	v_add_f64 v[50:51], v[7:8], -v[23:24]
	v_fma_f64 v[48:49], v[48:49], -0.5, v[1:2]
	v_add_f64 v[58:59], v[58:59], v[60:61]
	v_fma_f64 v[19:20], v[54:55], s[6:7], v[19:20]
	v_fma_f64 v[46:47], v[54:55], s[18:19], v[46:47]
	v_add_f64 v[54:55], v[11:12], -v[15:16]
	v_fma_f64 v[52:53], v[50:51], s[16:17], v[48:49]
	v_fma_f64 v[48:49], v[50:51], s[4:5], v[48:49]
	;; [unrolled: 1-line block ×4, first 2 shown]
	v_add_f64 v[46:47], v[1:2], v[5:6]
	v_fma_f64 v[52:53], v[54:55], s[18:19], v[52:53]
	v_fma_f64 v[48:49], v[54:55], s[6:7], v[48:49]
	v_add_f64 v[46:47], v[46:47], v[9:10]
	v_fma_f64 v[52:53], v[56:57], s[14:15], v[52:53]
	v_fma_f64 v[48:49], v[56:57], s[14:15], v[48:49]
	v_add_f64 v[56:57], v[5:6], v[21:22]
	v_add_f64 v[5:6], v[5:6], -v[21:22]
	v_add_f64 v[9:10], v[9:10], -v[13:14]
	v_add_f64 v[46:47], v[46:47], v[13:14]
	v_fma_f64 v[1:2], v[56:57], -0.5, v[1:2]
	v_add_f64 v[46:47], v[46:47], v[21:22]
	v_fma_f64 v[56:57], v[54:55], s[4:5], v[1:2]
	v_fma_f64 v[1:2], v[54:55], s[16:17], v[1:2]
	;; [unrolled: 1-line block ×6, first 2 shown]
	v_add_f64 v[1:2], v[3:4], v[7:8]
	v_add_f64 v[58:59], v[23:24], -v[15:16]
	v_add_f64 v[1:2], v[1:2], v[11:12]
	v_add_f64 v[1:2], v[1:2], v[15:16]
	;; [unrolled: 1-line block ×4, first 2 shown]
	v_fma_f64 v[1:2], v[1:2], -0.5, v[3:4]
	v_fma_f64 v[21:22], v[5:6], s[4:5], v[1:2]
	v_fma_f64 v[1:2], v[5:6], s[16:17], v[1:2]
	;; [unrolled: 1-line block ×3, first 2 shown]
	v_add_f64 v[21:22], v[7:8], -v[11:12]
	v_fma_f64 v[1:2], v[9:10], s[18:19], v[1:2]
	v_add_f64 v[21:22], v[21:22], v[58:59]
	v_fma_f64 v[60:61], v[21:22], s[14:15], v[1:2]
	v_add_f64 v[1:2], v[7:8], v[23:24]
	v_add_f64 v[7:8], v[11:12], -v[7:8]
	v_add_f64 v[11:12], v[15:16], -v[23:24]
	v_fma_f64 v[58:59], v[21:22], s[14:15], v[13:14]
	v_mul_f64 v[23:24], v[60:61], s[24:25]
	v_fma_f64 v[1:2], v[1:2], -0.5, v[3:4]
	v_add_f64 v[7:8], v[7:8], v[11:12]
	v_fma_f64 v[3:4], v[9:10], s[16:17], v[1:2]
	v_fma_f64 v[1:2], v[9:10], s[4:5], v[1:2]
	;; [unrolled: 1-line block ×5, first 2 shown]
	v_mul_f64 v[3:4], v[58:59], s[18:19]
	v_fma_f64 v[15:16], v[7:8], s[14:15], v[1:2]
	v_mul_f64 v[7:8], v[58:59], s[20:21]
	v_add_f64 v[1:2], v[29:30], v[46:47]
	v_add_f64 v[29:30], v[29:30], -v[46:47]
	v_fma_f64 v[62:63], v[52:53], s[20:21], v[3:4]
	v_mul_f64 v[3:4], v[11:12], s[16:17]
	v_mul_f64 v[11:12], v[11:12], s[14:15]
	v_fma_f64 v[52:53], v[52:53], s[6:7], v[7:8]
	v_add_f64 v[5:6], v[31:32], v[62:63]
	v_fma_f64 v[64:65], v[56:57], s[14:15], v[3:4]
	v_mul_f64 v[3:4], v[15:16], s[16:17]
	v_mul_f64 v[15:16], v[15:16], s[22:23]
	v_fma_f64 v[56:57], v[56:57], s[4:5], v[11:12]
	v_add_f64 v[7:8], v[25:26], v[52:53]
	v_add_f64 v[46:47], v[31:32], -v[62:63]
	v_add_f64 v[31:32], v[37:38], -v[54:55]
	v_add_f64 v[9:10], v[17:18], v[64:65]
	v_fma_f64 v[66:67], v[50:51], s[22:23], v[3:4]
	v_mul_f64 v[3:4], v[60:61], s[18:19]
	v_fma_f64 v[58:59], v[50:51], s[4:5], v[15:16]
	v_fma_f64 v[60:61], v[48:49], s[6:7], v[23:24]
	v_add_f64 v[11:12], v[19:20], v[56:57]
	v_add_f64 v[17:18], v[17:18], -v[64:65]
	v_add_f64 v[19:20], v[19:20], -v[56:57]
	v_add_f64 v[13:14], v[35:36], v[66:67]
	v_fma_f64 v[68:69], v[48:49], s[24:25], v[3:4]
	v_add_f64 v[3:4], v[37:38], v[54:55]
	v_add_f64 v[15:16], v[27:28], v[58:59]
	;; [unrolled: 1-line block ×3, first 2 shown]
	v_add_f64 v[48:49], v[25:26], -v[52:53]
	v_add_f64 v[35:36], v[35:36], -v[66:67]
	;; [unrolled: 1-line block ×4, first 2 shown]
	v_mul_u32_u24_e32 v25, 0xbe0, v43
	v_lshlrev_b32_e32 v26, 4, v45
	v_and_b32_e32 v45, 0xff, v42
	v_add3_u32 v25, 0, v25, v26
	v_mul_u32_u24_e32 v42, 9, v45
	v_add_nc_u32_sdwa v0, v45, v0 dst_sel:DWORD dst_unused:UNUSED_PAD src0_sel:DWORD src1_sel:WORD_0
	v_lshlrev_b32_e32 v62, 4, v42
	v_add_f64 v[21:22], v[33:34], v[68:69]
	v_add_f64 v[50:51], v[33:34], -v[68:69]
	ds_write_b128 v25, v[1:4]
	ds_write_b128 v25, v[5:8] offset:304
	ds_write_b128 v25, v[9:12] offset:608
	;; [unrolled: 1-line block ×9, first 2 shown]
	v_mad_i32_i24 v5, 0xfffff550, v43, v25
	s_waitcnt lgkmcnt(0)
	s_barrier
	buffer_gl0_inv
	ds_read_b128 v[1:4], v5
	ds_read_b128 v[37:40], v5 offset:3040
	ds_read_b128 v[33:36], v5 offset:6080
	;; [unrolled: 1-line block ×9, first 2 shown]
	s_clause 0x3
	global_load_dwordx4 v[46:49], v62, s[12:13] offset:48
	global_load_dwordx4 v[50:53], v62, s[12:13] offset:32
	global_load_dwordx4 v[54:57], v62, s[12:13] offset:16
	global_load_dwordx4 v[58:61], v62, s[12:13]
	s_waitcnt vmcnt(0) lgkmcnt(8)
	v_mul_f64 v[42:43], v[39:40], v[60:61]
	v_fma_f64 v[42:43], v[37:38], v[58:59], v[42:43]
	v_mul_f64 v[37:38], v[37:38], v[60:61]
	v_fma_f64 v[58:59], v[39:40], v[58:59], -v[37:38]
	s_waitcnt lgkmcnt(7)
	v_mul_f64 v[37:38], v[35:36], v[56:57]
	v_fma_f64 v[60:61], v[33:34], v[54:55], v[37:38]
	v_mul_f64 v[33:34], v[33:34], v[56:57]
	v_fma_f64 v[54:55], v[35:36], v[54:55], -v[33:34]
	s_waitcnt lgkmcnt(6)
	;; [unrolled: 5-line block ×3, first 2 shown]
	v_mul_f64 v[29:30], v[27:28], v[48:49]
	v_fma_f64 v[52:53], v[25:26], v[46:47], v[29:30]
	v_mul_f64 v[25:26], v[25:26], v[48:49]
	v_fma_f64 v[46:47], v[27:28], v[46:47], -v[25:26]
	s_clause 0x3
	global_load_dwordx4 v[25:28], v62, s[12:13] offset:112
	global_load_dwordx4 v[29:32], v62, s[12:13] offset:96
	global_load_dwordx4 v[33:36], v62, s[12:13] offset:80
	global_load_dwordx4 v[37:40], v62, s[12:13] offset:64
	s_waitcnt vmcnt(0) lgkmcnt(4)
	v_mul_f64 v[48:49], v[23:24], v[39:40]
	v_fma_f64 v[48:49], v[21:22], v[37:38], v[48:49]
	v_mul_f64 v[21:22], v[21:22], v[39:40]
	v_fma_f64 v[21:22], v[23:24], v[37:38], -v[21:22]
	s_waitcnt lgkmcnt(3)
	v_mul_f64 v[23:24], v[19:20], v[35:36]
	v_fma_f64 v[23:24], v[17:18], v[33:34], v[23:24]
	v_mul_f64 v[17:18], v[17:18], v[35:36]
	v_fma_f64 v[17:18], v[19:20], v[33:34], -v[17:18]
	s_waitcnt lgkmcnt(2)
	v_mul_f64 v[19:20], v[15:16], v[31:32]
	v_add_f64 v[33:34], v[60:61], -v[52:53]
	v_fma_f64 v[19:20], v[13:14], v[29:30], v[19:20]
	v_mul_f64 v[13:14], v[13:14], v[31:32]
	v_add_f64 v[31:32], v[46:47], -v[17:18]
	v_fma_f64 v[13:14], v[15:16], v[29:30], -v[13:14]
	s_waitcnt lgkmcnt(1)
	v_mul_f64 v[15:16], v[11:12], v[27:28]
	v_fma_f64 v[15:16], v[9:10], v[25:26], v[15:16]
	v_mul_f64 v[9:10], v[9:10], v[27:28]
	v_add_f64 v[35:36], v[15:16], -v[23:24]
	v_fma_f64 v[25:26], v[11:12], v[25:26], -v[9:10]
	global_load_dwordx4 v[9:12], v62, s[12:13] offset:128
	v_add_f64 v[37:38], v[23:24], -v[15:16]
	v_add_f64 v[33:34], v[33:34], v[35:36]
	s_waitcnt vmcnt(0) lgkmcnt(0)
	v_mul_f64 v[27:28], v[7:8], v[11:12]
	v_fma_f64 v[27:28], v[5:6], v[9:10], v[27:28]
	v_mul_f64 v[5:6], v[5:6], v[11:12]
	v_fma_f64 v[5:6], v[7:8], v[9:10], -v[5:6]
	v_add_f64 v[7:8], v[1:2], v[60:61]
	v_add_f64 v[9:10], v[54:55], -v[25:26]
	v_add_f64 v[7:8], v[7:8], v[52:53]
	v_add_f64 v[7:8], v[7:8], v[23:24]
	v_add_f64 v[29:30], v[7:8], v[15:16]
	v_add_f64 v[7:8], v[52:53], v[23:24]
	v_fma_f64 v[7:8], v[7:8], -0.5, v[1:2]
	v_fma_f64 v[11:12], v[9:10], s[16:17], v[7:8]
	v_fma_f64 v[7:8], v[9:10], s[4:5], v[7:8]
	;; [unrolled: 1-line block ×6, first 2 shown]
	v_add_f64 v[7:8], v[60:61], v[15:16]
	v_add_f64 v[11:12], v[52:53], -v[60:61]
	v_fma_f64 v[1:2], v[7:8], -0.5, v[1:2]
	v_add_f64 v[11:12], v[11:12], v[37:38]
	v_fma_f64 v[7:8], v[31:32], s[4:5], v[1:2]
	v_fma_f64 v[1:2], v[31:32], s[16:17], v[1:2]
	v_add_f64 v[31:32], v[25:26], -v[17:18]
	v_fma_f64 v[7:8], v[9:10], s[18:19], v[7:8]
	v_fma_f64 v[1:2], v[9:10], s[6:7], v[1:2]
	v_add_f64 v[9:10], v[60:61], -v[15:16]
	v_add_f64 v[15:16], v[52:53], -v[23:24]
	;; [unrolled: 1-line block ×3, first 2 shown]
	v_fma_f64 v[37:38], v[11:12], s[14:15], v[7:8]
	v_add_f64 v[7:8], v[3:4], v[54:55]
	v_fma_f64 v[1:2], v[11:12], s[14:15], v[1:2]
	v_add_f64 v[23:24], v[23:24], v[31:32]
	v_add_f64 v[31:32], v[19:20], -v[27:28]
	v_add_f64 v[7:8], v[7:8], v[46:47]
	v_add_f64 v[7:8], v[7:8], v[17:18]
	;; [unrolled: 1-line block ×4, first 2 shown]
	v_add_f64 v[17:18], v[17:18], -v[25:26]
	v_fma_f64 v[7:8], v[7:8], -0.5, v[3:4]
	v_fma_f64 v[11:12], v[9:10], s[4:5], v[7:8]
	v_fma_f64 v[7:8], v[9:10], s[16:17], v[7:8]
	;; [unrolled: 1-line block ×6, first 2 shown]
	v_add_f64 v[7:8], v[54:55], v[25:26]
	v_add_f64 v[11:12], v[46:47], -v[54:55]
	v_fma_f64 v[3:4], v[7:8], -0.5, v[3:4]
	v_add_f64 v[11:12], v[11:12], v[17:18]
	v_add_f64 v[17:18], v[27:28], -v[19:20]
	v_fma_f64 v[7:8], v[15:16], s[16:17], v[3:4]
	v_fma_f64 v[3:4], v[15:16], s[4:5], v[3:4]
	v_add_f64 v[15:16], v[56:57], -v[48:49]
	v_fma_f64 v[7:8], v[9:10], s[6:7], v[7:8]
	v_fma_f64 v[3:4], v[9:10], s[18:19], v[3:4]
	v_add_f64 v[15:16], v[15:16], v[17:18]
	v_add_f64 v[17:18], v[48:49], -v[56:57]
	v_fma_f64 v[46:47], v[11:12], s[14:15], v[7:8]
	v_fma_f64 v[54:55], v[11:12], s[14:15], v[3:4]
	v_add_f64 v[3:4], v[42:43], v[56:57]
	v_add_f64 v[7:8], v[50:51], -v[5:6]
	v_add_f64 v[11:12], v[21:22], -v[13:14]
	v_add_f64 v[17:18], v[17:18], v[31:32]
	v_add_f64 v[3:4], v[3:4], v[48:49]
	v_add_f64 v[3:4], v[3:4], v[19:20]
	v_add_f64 v[23:24], v[3:4], v[27:28]
	v_add_f64 v[3:4], v[48:49], v[19:20]
	v_fma_f64 v[3:4], v[3:4], -0.5, v[42:43]
	v_fma_f64 v[9:10], v[7:8], s[16:17], v[3:4]
	v_fma_f64 v[3:4], v[7:8], s[4:5], v[3:4]
	;; [unrolled: 1-line block ×6, first 2 shown]
	v_add_f64 v[3:4], v[56:57], v[27:28]
	v_fma_f64 v[3:4], v[3:4], -0.5, v[42:43]
	v_fma_f64 v[15:16], v[11:12], s[4:5], v[3:4]
	v_fma_f64 v[3:4], v[11:12], s[16:17], v[3:4]
	;; [unrolled: 1-line block ×4, first 2 shown]
	v_add_f64 v[7:8], v[56:57], -v[27:28]
	v_add_f64 v[27:28], v[5:6], -v[13:14]
	v_fma_f64 v[31:32], v[17:18], s[14:15], v[15:16]
	v_fma_f64 v[17:18], v[17:18], s[14:15], v[3:4]
	v_add_f64 v[3:4], v[58:59], v[50:51]
	v_add_f64 v[15:16], v[48:49], -v[19:20]
	v_add_f64 v[19:20], v[50:51], -v[21:22]
	v_add_f64 v[3:4], v[3:4], v[21:22]
	v_add_f64 v[19:20], v[19:20], v[27:28]
	;; [unrolled: 1-line block ×5, first 2 shown]
	v_fma_f64 v[3:4], v[3:4], -0.5, v[58:59]
	v_fma_f64 v[11:12], v[7:8], s[4:5], v[3:4]
	v_fma_f64 v[3:4], v[7:8], s[16:17], v[3:4]
	;; [unrolled: 1-line block ×6, first 2 shown]
	v_add_f64 v[3:4], v[50:51], v[5:6]
	v_add_f64 v[19:20], v[21:22], -v[50:51]
	v_add_f64 v[5:6], v[13:14], -v[5:6]
	v_fma_f64 v[3:4], v[3:4], -0.5, v[58:59]
	v_add_f64 v[5:6], v[19:20], v[5:6]
	v_fma_f64 v[11:12], v[15:16], s[16:17], v[3:4]
	v_fma_f64 v[3:4], v[15:16], s[4:5], v[3:4]
	v_fma_f64 v[11:12], v[7:8], s[6:7], v[11:12]
	v_fma_f64 v[3:4], v[7:8], s[18:19], v[3:4]
	v_fma_f64 v[13:14], v[5:6], s[14:15], v[11:12]
	v_fma_f64 v[21:22], v[5:6], s[14:15], v[3:4]
	v_mul_f64 v[5:6], v[27:28], s[18:19]
	v_mul_f64 v[27:28], v[27:28], s[20:21]
	v_add_f64 v[3:4], v[29:30], v[23:24]
	v_add_f64 v[23:24], v[29:30], -v[23:24]
	v_add_f64 v[29:30], v[39:40], -v[42:43]
	v_fma_f64 v[50:51], v[9:10], s[20:21], v[5:6]
	v_mul_f64 v[5:6], v[13:14], s[16:17]
	v_mul_f64 v[13:14], v[13:14], s[14:15]
	v_fma_f64 v[64:65], v[9:10], s[6:7], v[27:28]
	v_add_f64 v[7:8], v[35:36], v[50:51]
	v_fma_f64 v[56:57], v[31:32], s[14:15], v[5:6]
	v_mul_f64 v[5:6], v[21:22], s[16:17]
	v_mul_f64 v[21:22], v[21:22], s[22:23]
	v_fma_f64 v[66:67], v[31:32], s[4:5], v[13:14]
	v_add_f64 v[31:32], v[35:36], -v[50:51]
	v_add_f64 v[9:10], v[52:53], v[64:65]
	v_add_f64 v[11:12], v[37:38], v[56:57]
	v_fma_f64 v[58:59], v[17:18], s[22:23], v[5:6]
	v_mul_f64 v[5:6], v[48:49], s[18:19]
	v_fma_f64 v[68:69], v[17:18], s[4:5], v[21:22]
	v_mul_f64 v[21:22], v[48:49], s[24:25]
	v_add_f64 v[13:14], v[46:47], v[66:67]
	v_add_f64 v[35:36], v[37:38], -v[56:57]
	v_add_f64 v[37:38], v[46:47], -v[66:67]
	v_mov_b32_e32 v46, 4
	v_add_f64 v[15:16], v[1:2], v[58:59]
	v_fma_f64 v[62:63], v[25:26], s[24:25], v[5:6]
	v_add_f64 v[5:6], v[39:40], v[42:43]
	v_fma_f64 v[48:49], v[25:26], s[6:7], v[21:22]
	v_add_f64 v[25:26], v[1:2], -v[58:59]
	v_mul_lo_u32 v1, v41, v45
	v_add_f64 v[17:18], v[54:55], v[68:69]
	v_add_f64 v[39:40], v[54:55], -v[68:69]
	v_lshlrev_b32_sdwa v2, v46, v1 dst_sel:DWORD dst_unused:UNUSED_PAD src0_sel:DWORD src1_sel:BYTE_0
	v_bfe_u32 v1, v1, 8, 8
	v_lshl_or_b32 v1, v1, 4, 0x1000
	v_add_f64 v[19:20], v[33:34], v[62:63]
	v_add_f64 v[27:28], v[33:34], -v[62:63]
	v_add_f64 v[21:22], v[60:61], v[48:49]
	v_add_f64 v[33:34], v[52:53], -v[64:65]
	v_add_f64 v[42:43], v[60:61], -v[48:49]
	s_clause 0x1
	global_load_dwordx4 v[47:50], v2, s[10:11]
	global_load_dwordx4 v[51:54], v1, s[10:11]
	s_waitcnt vmcnt(0)
	v_mul_f64 v[1:2], v[49:50], v[53:54]
	v_fma_f64 v[55:56], v[47:48], v[51:52], -v[1:2]
	v_mul_f64 v[1:2], v[47:48], v[53:54]
	v_fma_f64 v[47:48], v[49:50], v[51:52], v[1:2]
	v_mul_f64 v[1:2], v[5:6], v[47:48]
	v_fma_f64 v[1:2], v[3:4], v[55:56], v[1:2]
	v_mul_f64 v[3:4], v[3:4], v[47:48]
	v_fma_f64 v[3:4], v[5:6], v[55:56], -v[3:4]
	v_add_nc_u32_e32 v5, 10, v45
	v_mul_lo_u32 v5, v41, v5
	v_lshlrev_b32_sdwa v6, v46, v5 dst_sel:DWORD dst_unused:UNUSED_PAD src0_sel:DWORD src1_sel:BYTE_0
	v_bfe_u32 v5, v5, 8, 8
	global_load_dwordx4 v[47:50], v6, s[10:11]
	v_lshl_or_b32 v5, v5, 4, 0x1000
	global_load_dwordx4 v[51:54], v5, s[10:11]
	s_waitcnt vmcnt(0)
	v_mul_f64 v[5:6], v[49:50], v[53:54]
	v_fma_f64 v[55:56], v[47:48], v[51:52], -v[5:6]
	v_mul_f64 v[5:6], v[47:48], v[53:54]
	v_fma_f64 v[47:48], v[49:50], v[51:52], v[5:6]
	v_mul_f64 v[5:6], v[9:10], v[47:48]
	v_fma_f64 v[5:6], v[7:8], v[55:56], v[5:6]
	v_mul_f64 v[7:8], v[7:8], v[47:48]
	v_fma_f64 v[7:8], v[9:10], v[55:56], -v[7:8]
	v_add_nc_u32_e32 v9, 20, v45
	v_mul_lo_u32 v9, v41, v9
	v_lshlrev_b32_sdwa v10, v46, v9 dst_sel:DWORD dst_unused:UNUSED_PAD src0_sel:DWORD src1_sel:BYTE_0
	v_bfe_u32 v9, v9, 8, 8
	global_load_dwordx4 v[47:50], v10, s[10:11]
	v_lshl_or_b32 v9, v9, 4, 0x1000
	;; [unrolled: 16-line block ×7, first 2 shown]
	global_load_dwordx4 v[51:54], v33, s[10:11]
	s_waitcnt vmcnt(0)
	v_mul_f64 v[33:34], v[49:50], v[53:54]
	v_fma_f64 v[55:56], v[47:48], v[51:52], -v[33:34]
	v_mul_f64 v[33:34], v[47:48], v[53:54]
	v_fma_f64 v[47:48], v[49:50], v[51:52], v[33:34]
	v_mul_f64 v[33:34], v[37:38], v[47:48]
	v_fma_f64 v[33:34], v[35:36], v[55:56], v[33:34]
	v_mul_f64 v[35:36], v[35:36], v[47:48]
	v_fma_f64 v[35:36], v[37:38], v[55:56], -v[35:36]
	v_or_b32_e32 v37, 0x50, v45
	v_mul_lo_u32 v37, v41, v37
	v_lshlrev_b32_sdwa v38, v46, v37 dst_sel:DWORD dst_unused:UNUSED_PAD src0_sel:DWORD src1_sel:BYTE_0
	v_bfe_u32 v37, v37, 8, 8
	global_load_dwordx4 v[47:50], v38, s[10:11]
	v_lshl_or_b32 v37, v37, 4, 0x1000
	global_load_dwordx4 v[51:54], v37, s[10:11]
	s_waitcnt vmcnt(0)
	v_mul_f64 v[37:38], v[49:50], v[53:54]
	v_fma_f64 v[55:56], v[47:48], v[51:52], -v[37:38]
	v_mul_f64 v[37:38], v[47:48], v[53:54]
	v_fma_f64 v[47:48], v[49:50], v[51:52], v[37:38]
	v_mul_f64 v[37:38], v[39:40], v[47:48]
	v_fma_f64 v[37:38], v[25:26], v[55:56], v[37:38]
	v_mul_f64 v[25:26], v[25:26], v[47:48]
	v_fma_f64 v[39:40], v[39:40], v[55:56], -v[25:26]
	v_add_nc_u32_e32 v25, 0x5a, v45
	v_mul_lo_u32 v25, v41, v25
	v_mul_lo_u32 v41, s8, v0
	v_lshlrev_b32_sdwa v26, v46, v25 dst_sel:DWORD dst_unused:UNUSED_PAD src0_sel:DWORD src1_sel:BYTE_0
	v_bfe_u32 v25, v25, 8, 8
	v_add_lshl_u32 v41, v44, v41, 4
	global_load_dwordx4 v[46:49], v26, s[10:11]
	v_lshl_or_b32 v25, v25, 4, 0x1000
	v_cndmask_b32_e32 v41, -1, v41, vcc_lo
	global_load_dwordx4 v[50:53], v25, s[10:11]
	buffer_store_dwordx4 v[1:4], v41, s[0:3], s9 offen
	v_add_nc_u32_e32 v1, 10, v0
	v_mul_lo_u32 v1, s8, v1
	v_add_lshl_u32 v1, v44, v1, 4
	v_cndmask_b32_e32 v1, -1, v1, vcc_lo
	buffer_store_dwordx4 v[5:8], v1, s[0:3], s9 offen
	v_add_nc_u32_e32 v1, 20, v0
	v_mul_lo_u32 v1, s8, v1
	v_add_lshl_u32 v1, v44, v1, 4
	v_cndmask_b32_e32 v1, -1, v1, vcc_lo
	;; [unrolled: 5-line block ×7, first 2 shown]
	buffer_store_dwordx4 v[33:36], v1, s[0:3], s9 offen
	v_add_nc_u32_e32 v1, 0x50, v0
	v_add_nc_u32_e32 v0, 0x5a, v0
	v_mul_lo_u32 v1, s8, v1
	v_mul_lo_u32 v0, s8, v0
	v_add_lshl_u32 v1, v44, v1, 4
	v_add_lshl_u32 v0, v44, v0, 4
	v_cndmask_b32_e32 v1, -1, v1, vcc_lo
	v_cndmask_b32_e32 v0, -1, v0, vcc_lo
	buffer_store_dwordx4 v[37:40], v1, s[0:3], s9 offen
	s_waitcnt vmcnt(0)
	v_mul_f64 v[25:26], v[48:49], v[52:53]
	v_fma_f64 v[54:55], v[46:47], v[50:51], -v[25:26]
	v_mul_f64 v[25:26], v[46:47], v[52:53]
	v_fma_f64 v[46:47], v[48:49], v[50:51], v[25:26]
	v_mul_f64 v[25:26], v[42:43], v[46:47]
	v_fma_f64 v[25:26], v[27:28], v[54:55], v[25:26]
	v_mul_f64 v[27:28], v[27:28], v[46:47]
	v_fma_f64 v[27:28], v[42:43], v[54:55], -v[27:28]
	buffer_store_dwordx4 v[25:28], v0, s[0:3], s9 offen
	s_endpgm
	.section	.rodata,"a",@progbits
	.p2align	6, 0x0
	.amdhsa_kernel fft_rtc_back_len100_factors_10_10_wgs_190_tpt_10_dim2_dp_ip_CI_sbcc_twdbase8_2step_dirReg_intrinsicReadWrite
		.amdhsa_group_segment_fixed_size 0
		.amdhsa_private_segment_fixed_size 0
		.amdhsa_kernarg_size 88
		.amdhsa_user_sgpr_count 6
		.amdhsa_user_sgpr_private_segment_buffer 1
		.amdhsa_user_sgpr_dispatch_ptr 0
		.amdhsa_user_sgpr_queue_ptr 0
		.amdhsa_user_sgpr_kernarg_segment_ptr 1
		.amdhsa_user_sgpr_dispatch_id 0
		.amdhsa_user_sgpr_flat_scratch_init 0
		.amdhsa_user_sgpr_private_segment_size 0
		.amdhsa_wavefront_size32 1
		.amdhsa_uses_dynamic_stack 0
		.amdhsa_system_sgpr_private_segment_wavefront_offset 0
		.amdhsa_system_sgpr_workgroup_id_x 1
		.amdhsa_system_sgpr_workgroup_id_y 0
		.amdhsa_system_sgpr_workgroup_id_z 0
		.amdhsa_system_sgpr_workgroup_info 0
		.amdhsa_system_vgpr_workitem_id 0
		.amdhsa_next_free_vgpr 70
		.amdhsa_next_free_sgpr 26
		.amdhsa_reserve_vcc 1
		.amdhsa_reserve_flat_scratch 0
		.amdhsa_float_round_mode_32 0
		.amdhsa_float_round_mode_16_64 0
		.amdhsa_float_denorm_mode_32 3
		.amdhsa_float_denorm_mode_16_64 3
		.amdhsa_dx10_clamp 1
		.amdhsa_ieee_mode 1
		.amdhsa_fp16_overflow 0
		.amdhsa_workgroup_processor_mode 1
		.amdhsa_memory_ordered 1
		.amdhsa_forward_progress 0
		.amdhsa_shared_vgpr_count 0
		.amdhsa_exception_fp_ieee_invalid_op 0
		.amdhsa_exception_fp_denorm_src 0
		.amdhsa_exception_fp_ieee_div_zero 0
		.amdhsa_exception_fp_ieee_overflow 0
		.amdhsa_exception_fp_ieee_underflow 0
		.amdhsa_exception_fp_ieee_inexact 0
		.amdhsa_exception_int_div_zero 0
	.end_amdhsa_kernel
	.text
.Lfunc_end0:
	.size	fft_rtc_back_len100_factors_10_10_wgs_190_tpt_10_dim2_dp_ip_CI_sbcc_twdbase8_2step_dirReg_intrinsicReadWrite, .Lfunc_end0-fft_rtc_back_len100_factors_10_10_wgs_190_tpt_10_dim2_dp_ip_CI_sbcc_twdbase8_2step_dirReg_intrinsicReadWrite
                                        ; -- End function
	.section	.AMDGPU.csdata,"",@progbits
; Kernel info:
; codeLenInByte = 5780
; NumSgprs: 28
; NumVgprs: 70
; ScratchSize: 0
; MemoryBound: 0
; FloatMode: 240
; IeeeMode: 1
; LDSByteSize: 0 bytes/workgroup (compile time only)
; SGPRBlocks: 3
; VGPRBlocks: 8
; NumSGPRsForWavesPerEU: 28
; NumVGPRsForWavesPerEU: 70
; Occupancy: 12
; WaveLimiterHint : 0
; COMPUTE_PGM_RSRC2:SCRATCH_EN: 0
; COMPUTE_PGM_RSRC2:USER_SGPR: 6
; COMPUTE_PGM_RSRC2:TRAP_HANDLER: 0
; COMPUTE_PGM_RSRC2:TGID_X_EN: 1
; COMPUTE_PGM_RSRC2:TGID_Y_EN: 0
; COMPUTE_PGM_RSRC2:TGID_Z_EN: 0
; COMPUTE_PGM_RSRC2:TIDIG_COMP_CNT: 0
	.text
	.p2alignl 6, 3214868480
	.fill 48, 4, 3214868480
	.type	__hip_cuid_b72484438fba3b36,@object ; @__hip_cuid_b72484438fba3b36
	.section	.bss,"aw",@nobits
	.globl	__hip_cuid_b72484438fba3b36
__hip_cuid_b72484438fba3b36:
	.byte	0                               ; 0x0
	.size	__hip_cuid_b72484438fba3b36, 1

	.ident	"AMD clang version 19.0.0git (https://github.com/RadeonOpenCompute/llvm-project roc-6.4.0 25133 c7fe45cf4b819c5991fe208aaa96edf142730f1d)"
	.section	".note.GNU-stack","",@progbits
	.addrsig
	.addrsig_sym __hip_cuid_b72484438fba3b36
	.amdgpu_metadata
---
amdhsa.kernels:
  - .args:
      - .actual_access:  read_only
        .address_space:  global
        .offset:         0
        .size:           8
        .value_kind:     global_buffer
      - .address_space:  global
        .offset:         8
        .size:           8
        .value_kind:     global_buffer
      - .actual_access:  read_only
        .address_space:  global
        .offset:         16
        .size:           8
        .value_kind:     global_buffer
      - .actual_access:  read_only
        .address_space:  global
        .offset:         24
        .size:           8
        .value_kind:     global_buffer
      - .offset:         32
        .size:           8
        .value_kind:     by_value
      - .actual_access:  read_only
        .address_space:  global
        .offset:         40
        .size:           8
        .value_kind:     global_buffer
      - .actual_access:  read_only
        .address_space:  global
        .offset:         48
        .size:           8
        .value_kind:     global_buffer
      - .offset:         56
        .size:           4
        .value_kind:     by_value
      - .actual_access:  read_only
        .address_space:  global
        .offset:         64
        .size:           8
        .value_kind:     global_buffer
      - .actual_access:  read_only
        .address_space:  global
        .offset:         72
        .size:           8
        .value_kind:     global_buffer
      - .address_space:  global
        .offset:         80
        .size:           8
        .value_kind:     global_buffer
    .group_segment_fixed_size: 0
    .kernarg_segment_align: 8
    .kernarg_segment_size: 88
    .language:       OpenCL C
    .language_version:
      - 2
      - 0
    .max_flat_workgroup_size: 190
    .name:           fft_rtc_back_len100_factors_10_10_wgs_190_tpt_10_dim2_dp_ip_CI_sbcc_twdbase8_2step_dirReg_intrinsicReadWrite
    .private_segment_fixed_size: 0
    .sgpr_count:     28
    .sgpr_spill_count: 0
    .symbol:         fft_rtc_back_len100_factors_10_10_wgs_190_tpt_10_dim2_dp_ip_CI_sbcc_twdbase8_2step_dirReg_intrinsicReadWrite.kd
    .uniform_work_group_size: 1
    .uses_dynamic_stack: false
    .vgpr_count:     70
    .vgpr_spill_count: 0
    .wavefront_size: 32
    .workgroup_processor_mode: 1
amdhsa.target:   amdgcn-amd-amdhsa--gfx1030
amdhsa.version:
  - 1
  - 2
...

	.end_amdgpu_metadata
